;; amdgpu-corpus repo=ROCm/rocFFT kind=compiled arch=gfx906 opt=O3
	.text
	.amdgcn_target "amdgcn-amd-amdhsa--gfx906"
	.amdhsa_code_object_version 6
	.protected	fft_rtc_back_len630_factors_3_3_5_7_2_wgs_63_tpt_63_halfLds_dp_ip_CI_sbrr_dirReg ; -- Begin function fft_rtc_back_len630_factors_3_3_5_7_2_wgs_63_tpt_63_halfLds_dp_ip_CI_sbrr_dirReg
	.globl	fft_rtc_back_len630_factors_3_3_5_7_2_wgs_63_tpt_63_halfLds_dp_ip_CI_sbrr_dirReg
	.p2align	8
	.type	fft_rtc_back_len630_factors_3_3_5_7_2_wgs_63_tpt_63_halfLds_dp_ip_CI_sbrr_dirReg,@function
fft_rtc_back_len630_factors_3_3_5_7_2_wgs_63_tpt_63_halfLds_dp_ip_CI_sbrr_dirReg: ; @fft_rtc_back_len630_factors_3_3_5_7_2_wgs_63_tpt_63_halfLds_dp_ip_CI_sbrr_dirReg
; %bb.0:
	s_load_dwordx2 s[2:3], s[4:5], 0x18
	s_load_dwordx4 s[8:11], s[4:5], 0x0
	s_load_dwordx2 s[14:15], s[4:5], 0x50
	v_mul_u32_u24_e32 v1, 0x411, v0
	v_add_u32_sdwa v5, s6, v1 dst_sel:DWORD dst_unused:UNUSED_PAD src0_sel:DWORD src1_sel:WORD_1
	s_waitcnt lgkmcnt(0)
	s_load_dwordx2 s[12:13], s[2:3], 0x0
	v_cmp_lt_u64_e64 s[0:1], s[10:11], 2
	v_mov_b32_e32 v3, 0
	v_mov_b32_e32 v1, 0
	;; [unrolled: 1-line block ×3, first 2 shown]
	s_and_b64 vcc, exec, s[0:1]
	v_mov_b32_e32 v2, 0
	s_cbranch_vccnz .LBB0_8
; %bb.1:
	s_load_dwordx2 s[0:1], s[4:5], 0x10
	s_add_u32 s6, s2, 8
	s_addc_u32 s7, s3, 0
	v_mov_b32_e32 v1, 0
	v_mov_b32_e32 v2, 0
	s_waitcnt lgkmcnt(0)
	s_add_u32 s16, s0, 8
	s_addc_u32 s17, s1, 0
	s_mov_b64 s[18:19], 1
.LBB0_2:                                ; =>This Inner Loop Header: Depth=1
	s_load_dwordx2 s[20:21], s[16:17], 0x0
                                        ; implicit-def: $vgpr7_vgpr8
	s_waitcnt lgkmcnt(0)
	v_or_b32_e32 v4, s21, v6
	v_cmp_ne_u64_e32 vcc, 0, v[3:4]
	s_and_saveexec_b64 s[0:1], vcc
	s_xor_b64 s[22:23], exec, s[0:1]
	s_cbranch_execz .LBB0_4
; %bb.3:                                ;   in Loop: Header=BB0_2 Depth=1
	v_cvt_f32_u32_e32 v4, s20
	v_cvt_f32_u32_e32 v7, s21
	s_sub_u32 s0, 0, s20
	s_subb_u32 s1, 0, s21
	v_mac_f32_e32 v4, 0x4f800000, v7
	v_rcp_f32_e32 v4, v4
	v_mul_f32_e32 v4, 0x5f7ffffc, v4
	v_mul_f32_e32 v7, 0x2f800000, v4
	v_trunc_f32_e32 v7, v7
	v_mac_f32_e32 v4, 0xcf800000, v7
	v_cvt_u32_f32_e32 v7, v7
	v_cvt_u32_f32_e32 v4, v4
	v_mul_lo_u32 v8, s0, v7
	v_mul_hi_u32 v9, s0, v4
	v_mul_lo_u32 v11, s1, v4
	v_mul_lo_u32 v10, s0, v4
	v_add_u32_e32 v8, v9, v8
	v_add_u32_e32 v8, v8, v11
	v_mul_hi_u32 v9, v4, v10
	v_mul_lo_u32 v11, v4, v8
	v_mul_hi_u32 v13, v4, v8
	v_mul_hi_u32 v12, v7, v10
	v_mul_lo_u32 v10, v7, v10
	v_mul_hi_u32 v14, v7, v8
	v_add_co_u32_e32 v9, vcc, v9, v11
	v_addc_co_u32_e32 v11, vcc, 0, v13, vcc
	v_mul_lo_u32 v8, v7, v8
	v_add_co_u32_e32 v9, vcc, v9, v10
	v_addc_co_u32_e32 v9, vcc, v11, v12, vcc
	v_addc_co_u32_e32 v10, vcc, 0, v14, vcc
	v_add_co_u32_e32 v8, vcc, v9, v8
	v_addc_co_u32_e32 v9, vcc, 0, v10, vcc
	v_add_co_u32_e32 v4, vcc, v4, v8
	v_addc_co_u32_e32 v7, vcc, v7, v9, vcc
	v_mul_lo_u32 v8, s0, v7
	v_mul_hi_u32 v9, s0, v4
	v_mul_lo_u32 v10, s1, v4
	v_mul_lo_u32 v11, s0, v4
	v_add_u32_e32 v8, v9, v8
	v_add_u32_e32 v8, v8, v10
	v_mul_lo_u32 v12, v4, v8
	v_mul_hi_u32 v13, v4, v11
	v_mul_hi_u32 v14, v4, v8
	;; [unrolled: 1-line block ×3, first 2 shown]
	v_mul_lo_u32 v11, v7, v11
	v_mul_hi_u32 v9, v7, v8
	v_add_co_u32_e32 v12, vcc, v13, v12
	v_addc_co_u32_e32 v13, vcc, 0, v14, vcc
	v_mul_lo_u32 v8, v7, v8
	v_add_co_u32_e32 v11, vcc, v12, v11
	v_addc_co_u32_e32 v10, vcc, v13, v10, vcc
	v_addc_co_u32_e32 v9, vcc, 0, v9, vcc
	v_add_co_u32_e32 v8, vcc, v10, v8
	v_addc_co_u32_e32 v9, vcc, 0, v9, vcc
	v_add_co_u32_e32 v4, vcc, v4, v8
	v_addc_co_u32_e32 v9, vcc, v7, v9, vcc
	v_mad_u64_u32 v[7:8], s[0:1], v5, v9, 0
	v_mul_hi_u32 v10, v5, v4
	v_add_co_u32_e32 v11, vcc, v10, v7
	v_addc_co_u32_e32 v12, vcc, 0, v8, vcc
	v_mad_u64_u32 v[7:8], s[0:1], v6, v4, 0
	v_mad_u64_u32 v[9:10], s[0:1], v6, v9, 0
	v_add_co_u32_e32 v4, vcc, v11, v7
	v_addc_co_u32_e32 v4, vcc, v12, v8, vcc
	v_addc_co_u32_e32 v7, vcc, 0, v10, vcc
	v_add_co_u32_e32 v4, vcc, v4, v9
	v_addc_co_u32_e32 v9, vcc, 0, v7, vcc
	v_mul_lo_u32 v10, s21, v4
	v_mul_lo_u32 v11, s20, v9
	v_mad_u64_u32 v[7:8], s[0:1], s20, v4, 0
	v_add3_u32 v8, v8, v11, v10
	v_sub_u32_e32 v10, v6, v8
	v_mov_b32_e32 v11, s21
	v_sub_co_u32_e32 v7, vcc, v5, v7
	v_subb_co_u32_e64 v10, s[0:1], v10, v11, vcc
	v_subrev_co_u32_e64 v11, s[0:1], s20, v7
	v_subbrev_co_u32_e64 v10, s[0:1], 0, v10, s[0:1]
	v_cmp_le_u32_e64 s[0:1], s21, v10
	v_cndmask_b32_e64 v12, 0, -1, s[0:1]
	v_cmp_le_u32_e64 s[0:1], s20, v11
	v_cndmask_b32_e64 v11, 0, -1, s[0:1]
	v_cmp_eq_u32_e64 s[0:1], s21, v10
	v_cndmask_b32_e64 v10, v12, v11, s[0:1]
	v_add_co_u32_e64 v11, s[0:1], 2, v4
	v_addc_co_u32_e64 v12, s[0:1], 0, v9, s[0:1]
	v_add_co_u32_e64 v13, s[0:1], 1, v4
	v_addc_co_u32_e64 v14, s[0:1], 0, v9, s[0:1]
	v_subb_co_u32_e32 v8, vcc, v6, v8, vcc
	v_cmp_ne_u32_e64 s[0:1], 0, v10
	v_cmp_le_u32_e32 vcc, s21, v8
	v_cndmask_b32_e64 v10, v14, v12, s[0:1]
	v_cndmask_b32_e64 v12, 0, -1, vcc
	v_cmp_le_u32_e32 vcc, s20, v7
	v_cndmask_b32_e64 v7, 0, -1, vcc
	v_cmp_eq_u32_e32 vcc, s21, v8
	v_cndmask_b32_e32 v7, v12, v7, vcc
	v_cmp_ne_u32_e32 vcc, 0, v7
	v_cndmask_b32_e64 v7, v13, v11, s[0:1]
	v_cndmask_b32_e32 v8, v9, v10, vcc
	v_cndmask_b32_e32 v7, v4, v7, vcc
.LBB0_4:                                ;   in Loop: Header=BB0_2 Depth=1
	s_andn2_saveexec_b64 s[0:1], s[22:23]
	s_cbranch_execz .LBB0_6
; %bb.5:                                ;   in Loop: Header=BB0_2 Depth=1
	v_cvt_f32_u32_e32 v4, s20
	s_sub_i32 s22, 0, s20
	v_rcp_iflag_f32_e32 v4, v4
	v_mul_f32_e32 v4, 0x4f7ffffe, v4
	v_cvt_u32_f32_e32 v4, v4
	v_mul_lo_u32 v7, s22, v4
	v_mul_hi_u32 v7, v4, v7
	v_add_u32_e32 v4, v4, v7
	v_mul_hi_u32 v4, v5, v4
	v_mul_lo_u32 v7, v4, s20
	v_add_u32_e32 v8, 1, v4
	v_sub_u32_e32 v7, v5, v7
	v_subrev_u32_e32 v9, s20, v7
	v_cmp_le_u32_e32 vcc, s20, v7
	v_cndmask_b32_e32 v7, v7, v9, vcc
	v_cndmask_b32_e32 v4, v4, v8, vcc
	v_add_u32_e32 v8, 1, v4
	v_cmp_le_u32_e32 vcc, s20, v7
	v_cndmask_b32_e32 v7, v4, v8, vcc
	v_mov_b32_e32 v8, v3
.LBB0_6:                                ;   in Loop: Header=BB0_2 Depth=1
	s_or_b64 exec, exec, s[0:1]
	v_mul_lo_u32 v4, v8, s20
	v_mul_lo_u32 v11, v7, s21
	v_mad_u64_u32 v[9:10], s[0:1], v7, s20, 0
	s_load_dwordx2 s[0:1], s[6:7], 0x0
	s_add_u32 s18, s18, 1
	v_add3_u32 v4, v10, v11, v4
	v_sub_co_u32_e32 v5, vcc, v5, v9
	v_subb_co_u32_e32 v4, vcc, v6, v4, vcc
	s_waitcnt lgkmcnt(0)
	v_mul_lo_u32 v4, s0, v4
	v_mul_lo_u32 v6, s1, v5
	v_mad_u64_u32 v[1:2], s[0:1], s0, v5, v[1:2]
	s_addc_u32 s19, s19, 0
	s_add_u32 s6, s6, 8
	v_add3_u32 v2, v6, v2, v4
	v_mov_b32_e32 v4, s10
	v_mov_b32_e32 v5, s11
	s_addc_u32 s7, s7, 0
	v_cmp_ge_u64_e32 vcc, s[18:19], v[4:5]
	s_add_u32 s16, s16, 8
	s_addc_u32 s17, s17, 0
	s_cbranch_vccnz .LBB0_9
; %bb.7:                                ;   in Loop: Header=BB0_2 Depth=1
	v_mov_b32_e32 v5, v7
	v_mov_b32_e32 v6, v8
	s_branch .LBB0_2
.LBB0_8:
	v_mov_b32_e32 v8, v6
	v_mov_b32_e32 v7, v5
.LBB0_9:
	s_lshl_b64 s[0:1], s[10:11], 3
	s_add_u32 s0, s2, s0
	s_addc_u32 s1, s3, s1
	s_load_dwordx2 s[2:3], s[0:1], 0x0
	s_load_dwordx2 s[6:7], s[4:5], 0x20
                                        ; implicit-def: $vgpr70
                                        ; implicit-def: $vgpr68
	s_waitcnt lgkmcnt(0)
	v_mad_u64_u32 v[1:2], s[0:1], s2, v7, v[1:2]
	s_mov_b32 s0, 0x4104105
	v_mul_lo_u32 v3, s2, v8
	v_mul_lo_u32 v4, s3, v7
	v_mul_hi_u32 v5, v0, s0
	v_cmp_gt_u64_e32 vcc, s[6:7], v[7:8]
	v_cmp_le_u64_e64 s[0:1], s[6:7], v[7:8]
	v_add3_u32 v2, v4, v2, v3
	v_mul_u32_u24_e32 v3, 63, v5
	v_sub_u32_e32 v64, v0, v3
	v_add_u32_e32 v75, 63, v64
	s_and_saveexec_b64 s[2:3], s[0:1]
	s_xor_b64 s[0:1], exec, s[2:3]
; %bb.10:
	v_add_u32_e32 v70, 63, v64
	v_add_u32_e32 v68, 0x7e, v64
; %bb.11:
	s_or_saveexec_b64 s[2:3], s[0:1]
	v_lshlrev_b64 v[66:67], 4, v[1:2]
                                        ; implicit-def: $vgpr62_vgpr63
                                        ; implicit-def: $vgpr58_vgpr59
                                        ; implicit-def: $vgpr54_vgpr55
                                        ; implicit-def: $vgpr10_vgpr11
                                        ; implicit-def: $vgpr26_vgpr27
                                        ; implicit-def: $vgpr30_vgpr31
                                        ; implicit-def: $vgpr22_vgpr23
                                        ; implicit-def: $vgpr34_vgpr35
                                        ; implicit-def: $vgpr38_vgpr39
                                        ; implicit-def: $vgpr42_vgpr43
                                        ; implicit-def: $vgpr50_vgpr51
                                        ; implicit-def: $vgpr46_vgpr47
	s_xor_b64 exec, exec, s[2:3]
	s_cbranch_execz .LBB0_15
; %bb.12:
	v_mad_u64_u32 v[2:3], s[0:1], s12, v64, 0
	v_add_u32_e32 v7, 0xd2, v64
	v_mad_u64_u32 v[4:5], s[0:1], s12, v7, 0
	v_mov_b32_e32 v0, v3
	v_mad_u64_u32 v[0:1], s[0:1], s13, v64, v[0:1]
	v_mov_b32_e32 v6, s15
	v_add_u32_e32 v8, 0x1a4, v64
	v_mov_b32_e32 v3, v0
	v_add_co_u32_e64 v0, s[0:1], s14, v66
	v_addc_co_u32_e64 v1, s[0:1], v6, v67, s[0:1]
	v_mad_u64_u32 v[5:6], s[0:1], s13, v7, v[5:6]
	v_mad_u64_u32 v[6:7], s[0:1], s12, v8, 0
	v_lshlrev_b64 v[2:3], 4, v[2:3]
	v_lshlrev_b64 v[4:5], 4, v[4:5]
	v_add_co_u32_e64 v2, s[0:1], v0, v2
	v_addc_co_u32_e64 v3, s[0:1], v1, v3, s[0:1]
	v_mad_u64_u32 v[7:8], s[0:1], s13, v8, v[7:8]
	v_mad_u64_u32 v[8:9], s[0:1], s12, v75, 0
	v_add_co_u32_e64 v4, s[0:1], v0, v4
	v_addc_co_u32_e64 v5, s[0:1], v1, v5, s[0:1]
	v_mad_u64_u32 v[9:10], s[0:1], s13, v75, v[9:10]
	v_add_u32_e32 v12, 0x111, v64
	v_mad_u64_u32 v[10:11], s[0:1], s12, v12, 0
	v_lshlrev_b64 v[6:7], 4, v[6:7]
	v_add_u32_e32 v16, 0x1e3, v64
	v_add_co_u32_e64 v6, s[0:1], v0, v6
	v_addc_co_u32_e64 v7, s[0:1], v1, v7, s[0:1]
	v_mad_u64_u32 v[11:12], s[0:1], s13, v12, v[11:12]
	v_mad_u64_u32 v[12:13], s[0:1], s12, v16, 0
	v_lshlrev_b64 v[8:9], 4, v[8:9]
	v_add_u32_e32 v68, 0x7e, v64
	v_add_co_u32_e64 v14, s[0:1], v0, v8
	v_addc_co_u32_e64 v15, s[0:1], v1, v9, s[0:1]
	v_lshlrev_b64 v[8:9], 4, v[10:11]
	v_mov_b32_e32 v10, v13
	v_mad_u64_u32 v[10:11], s[0:1], s13, v16, v[10:11]
	v_mad_u64_u32 v[16:17], s[0:1], s12, v68, 0
	v_add_co_u32_e64 v18, s[0:1], v0, v8
	v_mov_b32_e32 v13, v10
	v_mov_b32_e32 v10, v17
	v_addc_co_u32_e64 v19, s[0:1], v1, v9, s[0:1]
	v_lshlrev_b64 v[8:9], 4, v[12:13]
	v_mad_u64_u32 v[10:11], s[0:1], s13, v68, v[10:11]
	v_add_u32_e32 v13, 0x150, v64
	v_mad_u64_u32 v[11:12], s[0:1], s12, v13, 0
	v_add_co_u32_e64 v52, s[0:1], v0, v8
	v_mov_b32_e32 v17, v10
	v_mov_b32_e32 v10, v12
	v_addc_co_u32_e64 v53, s[0:1], v1, v9, s[0:1]
	v_mad_u64_u32 v[12:13], s[0:1], s13, v13, v[10:11]
	v_add_u32_e32 v13, 0x222, v64
	v_lshlrev_b64 v[8:9], 4, v[16:17]
	v_mad_u64_u32 v[16:17], s[0:1], s12, v13, 0
	v_add_co_u32_e64 v54, s[0:1], v0, v8
	v_mov_b32_e32 v10, v17
	v_addc_co_u32_e64 v55, s[0:1], v1, v9, s[0:1]
	v_lshlrev_b64 v[8:9], 4, v[11:12]
	v_mad_u64_u32 v[10:11], s[0:1], s13, v13, v[10:11]
	v_add_co_u32_e64 v12, s[0:1], v0, v8
	v_mov_b32_e32 v17, v10
	v_addc_co_u32_e64 v13, s[0:1], v1, v9, s[0:1]
	v_lshlrev_b64 v[8:9], 4, v[16:17]
                                        ; implicit-def: $vgpr56_vgpr57
                                        ; implicit-def: $vgpr60_vgpr61
	v_add_co_u32_e64 v16, s[0:1], v0, v8
	v_addc_co_u32_e64 v17, s[0:1], v1, v9, s[0:1]
	global_load_dwordx4 v[44:47], v[2:3], off
	global_load_dwordx4 v[48:51], v[4:5], off
	;; [unrolled: 1-line block ×9, first 2 shown]
	v_cmp_gt_u32_e64 s[0:1], 21, v64
                                        ; implicit-def: $vgpr52_vgpr53
	s_and_saveexec_b64 s[4:5], s[0:1]
	s_cbranch_execz .LBB0_14
; %bb.13:
	v_add_u32_e32 v6, 0xbd, v64
	v_add_u32_e32 v12, 0x18f, v64
	v_mad_u64_u32 v[2:3], s[0:1], s12, v6, 0
	v_mad_u64_u32 v[4:5], s[0:1], s12, v12, 0
	;; [unrolled: 1-line block ×3, first 2 shown]
	v_mov_b32_e32 v3, v6
	v_mad_u64_u32 v[5:6], s[0:1], s13, v12, v[5:6]
	v_add_u32_e32 v12, 0x261, v64
	v_mad_u64_u32 v[6:7], s[0:1], s12, v12, 0
	v_lshlrev_b64 v[2:3], 4, v[2:3]
	v_lshlrev_b64 v[4:5], 4, v[4:5]
	v_add_co_u32_e64 v2, s[0:1], v0, v2
	v_addc_co_u32_e64 v3, s[0:1], v1, v3, s[0:1]
	s_waitcnt vmcnt(0)
	v_mad_u64_u32 v[12:13], s[0:1], s13, v12, v[7:8]
	v_add_co_u32_e64 v4, s[0:1], v0, v4
	v_mov_b32_e32 v7, v12
	v_addc_co_u32_e64 v5, s[0:1], v1, v5, s[0:1]
	global_load_dwordx4 v[52:55], v[2:3], off
	global_load_dwordx4 v[56:59], v[4:5], off
	v_lshlrev_b64 v[2:3], 4, v[6:7]
	v_add_co_u32_e64 v0, s[0:1], v0, v2
	v_addc_co_u32_e64 v1, s[0:1], v1, v3, s[0:1]
	global_load_dwordx4 v[60:63], v[0:1], off
.LBB0_14:
	s_or_b64 exec, exec, s[4:5]
	v_mov_b32_e32 v70, v75
.LBB0_15:
	s_or_b64 exec, exec, s[2:3]
	s_waitcnt vmcnt(6)
	v_add_f64 v[0:1], v[40:41], v[48:49]
	v_add_f64 v[2:3], v[48:49], v[44:45]
	v_add_f64 v[4:5], v[50:51], -v[42:43]
	s_mov_b32 s0, 0xe8584caa
	s_mov_b32 s1, 0xbfebb67a
	;; [unrolled: 1-line block ×3, first 2 shown]
	s_waitcnt vmcnt(3)
	v_add_f64 v[12:13], v[20:21], v[32:33]
	s_waitcnt vmcnt(0)
	v_add_f64 v[16:17], v[8:9], v[24:25]
	v_fma_f64 v[0:1], v[0:1], -0.5, v[44:45]
	v_add_f64 v[18:19], v[60:61], v[56:57]
	s_mov_b32 s2, s0
	v_add_f64 v[2:3], v[40:41], v[2:3]
	v_mad_u32_u24 v65, v64, 24, 0
	v_add_f64 v[6:7], v[32:33], v[36:37]
	v_add_f64 v[14:15], v[34:35], -v[22:23]
	v_add_f64 v[71:72], v[26:27], -v[10:11]
	v_fma_f64 v[44:45], v[4:5], s[0:1], v[0:1]
	v_fma_f64 v[0:1], v[4:5], s[2:3], v[0:1]
	v_add_f64 v[4:5], v[24:25], v[28:29]
	v_fma_f64 v[12:13], v[12:13], -0.5, v[36:37]
	v_add_f64 v[36:37], v[56:57], v[52:53]
	v_fma_f64 v[16:17], v[16:17], -0.5, v[28:29]
	v_fma_f64 v[18:19], v[18:19], -0.5, v[52:53]
	v_mad_i32_i24 v69, v70, 24, 0
	ds_write2_b64 v65, v[2:3], v[44:45] offset1:1
	ds_write_b64 v65, v[0:1] offset:16
	v_add_f64 v[0:1], v[58:59], -v[62:63]
	v_add_f64 v[2:3], v[20:21], v[6:7]
	v_fma_f64 v[28:29], v[14:15], s[0:1], v[12:13]
	v_fma_f64 v[12:13], v[14:15], s[2:3], v[12:13]
	v_add_f64 v[14:15], v[8:9], v[4:5]
	v_fma_f64 v[44:45], v[71:72], s[0:1], v[16:17]
	v_add_f64 v[4:5], v[60:61], v[36:37]
	v_fma_f64 v[16:17], v[71:72], s[2:3], v[16:17]
	v_fma_f64 v[6:7], v[0:1], s[0:1], v[18:19]
	;; [unrolled: 1-line block ×3, first 2 shown]
	v_mad_i32_i24 v73, v68, 24, 0
	v_cmp_gt_u32_e64 s[0:1], 21, v64
	ds_write2_b64 v69, v[2:3], v[28:29] offset1:1
	ds_write_b64 v69, v[12:13] offset:16
	ds_write2_b64 v73, v[14:15], v[44:45] offset1:1
	ds_write_b64 v73, v[16:17] offset:16
	s_and_saveexec_b64 s[2:3], s[0:1]
	s_cbranch_execz .LBB0_17
; %bb.16:
	v_add_u32_e32 v0, 0x11b8, v65
	ds_write2_b64 v0, v[4:5], v[6:7] offset1:1
	ds_write_b64 v65, v[36:37] offset:4552
.LBB0_17:
	s_or_b64 exec, exec, s[2:3]
	v_lshlrev_b32_e32 v0, 4, v64
	v_sub_u32_e32 v76, v65, v0
	v_lshlrev_b32_e32 v28, 4, v70
	v_lshlrev_b32_e32 v29, 4, v68
	v_add_u32_e32 v12, 0x800, v76
	v_sub_u32_e32 v52, v69, v28
	v_sub_u32_e32 v44, v73, v29
	s_waitcnt lgkmcnt(0)
	; wave barrier
	s_waitcnt lgkmcnt(0)
	ds_read2_b64 v[0:3], v76 offset1:210
	ds_read2_b64 v[16:19], v12 offset0:164 offset1:227
	ds_read2_b64 v[12:15], v12 offset0:17 offset1:80
	ds_read_b64 v[44:45], v44
	ds_read_b64 v[52:53], v52
	ds_read_b64 v[71:72], v76 offset:4368
	s_and_saveexec_b64 s[2:3], s[0:1]
	s_cbranch_execz .LBB0_19
; %bb.18:
	v_add_u32_e32 v4, 0x500, v76
	ds_read2_b64 v[4:7], v4 offset0:29 offset1:239
	ds_read_b64 v[36:37], v76 offset:4872
.LBB0_19:
	s_or_b64 exec, exec, s[2:3]
	v_add_f64 v[78:79], v[42:43], v[50:51]
	v_sub_u32_e32 v77, 0, v28
	v_sub_u32_e32 v74, 0, v29
	v_add_f64 v[28:29], v[50:51], v[46:47]
	v_add_f64 v[40:41], v[48:49], -v[40:41]
	v_add_f64 v[48:49], v[22:23], v[34:35]
	v_add_f64 v[50:51], v[10:11], v[26:27]
	s_mov_b32 s2, 0xe8584caa
	v_fma_f64 v[46:47], v[78:79], -0.5, v[46:47]
	v_add_f64 v[78:79], v[62:63], v[58:59]
	s_mov_b32 s3, 0x3febb67a
	s_mov_b32 s5, 0xbfebb67a
	;; [unrolled: 1-line block ×3, first 2 shown]
	v_add_f64 v[34:35], v[34:35], v[38:39]
	v_add_f64 v[28:29], v[42:43], v[28:29]
	v_fma_f64 v[38:39], v[48:49], -0.5, v[38:39]
	v_fma_f64 v[42:43], v[40:41], s[2:3], v[46:47]
	v_fma_f64 v[40:41], v[40:41], s[4:5], v[46:47]
	v_add_f64 v[20:21], v[32:33], -v[20:21]
	v_add_f64 v[26:27], v[26:27], v[30:31]
	v_fma_f64 v[30:31], v[50:51], -0.5, v[30:31]
	v_add_f64 v[8:9], v[24:25], -v[8:9]
	v_add_f64 v[24:25], v[58:59], v[54:55]
	v_fma_f64 v[32:33], v[78:79], -0.5, v[54:55]
	v_add_f64 v[46:47], v[56:57], -v[60:61]
	v_add_f64 v[22:23], v[22:23], v[34:35]
	v_fma_f64 v[34:35], v[20:21], s[2:3], v[38:39]
	v_fma_f64 v[20:21], v[20:21], s[4:5], v[38:39]
	v_add_f64 v[26:27], v[10:11], v[26:27]
	v_fma_f64 v[48:49], v[8:9], s[2:3], v[30:31]
	v_fma_f64 v[30:31], v[8:9], s[4:5], v[30:31]
	;; [unrolled: 3-line block ×3, first 2 shown]
	s_waitcnt lgkmcnt(0)
	; wave barrier
	s_waitcnt lgkmcnt(0)
	ds_write2_b64 v65, v[28:29], v[42:43] offset1:1
	ds_write_b64 v65, v[40:41] offset:16
	ds_write2_b64 v69, v[22:23], v[34:35] offset1:1
	ds_write_b64 v69, v[20:21] offset:16
	;; [unrolled: 2-line block ×3, first 2 shown]
	s_and_saveexec_b64 s[2:3], s[0:1]
	s_cbranch_execz .LBB0_21
; %bb.20:
	v_add_u32_e32 v20, 0x11b8, v65
	ds_write2_b64 v20, v[8:9], v[10:11] offset1:1
	ds_write_b64 v65, v[38:39] offset:4552
.LBB0_21:
	s_or_b64 exec, exec, s[2:3]
	v_add_u32_e32 v24, 0x800, v76
	v_add_u32_e32 v79, v73, v74
	s_waitcnt lgkmcnt(0)
	; wave barrier
	s_waitcnt lgkmcnt(0)
	ds_read2_b64 v[20:23], v76 offset1:210
	ds_read2_b64 v[28:31], v24 offset0:164 offset1:227
	v_add_u32_e32 v78, v69, v77
	ds_read2_b64 v[24:27], v24 offset0:17 offset1:80
	ds_read_b64 v[32:33], v79
	ds_read_b64 v[34:35], v78
	ds_read_b64 v[40:41], v76 offset:4368
	s_and_saveexec_b64 s[2:3], s[0:1]
	s_cbranch_execz .LBB0_23
; %bb.22:
	v_add_u32_e32 v8, 0x500, v76
	ds_read2_b64 v[8:11], v8 offset0:29 offset1:239
	ds_read_b64 v[38:39], v76 offset:4872
.LBB0_23:
	s_or_b64 exec, exec, s[2:3]
	s_movk_i32 s2, 0xab
	v_mul_lo_u16_sdwa v42, v64, s2 dst_sel:DWORD dst_unused:UNUSED_PAD src0_sel:BYTE_0 src1_sel:DWORD
	v_mul_lo_u16_sdwa v54, v70, s2 dst_sel:DWORD dst_unused:UNUSED_PAD src0_sel:BYTE_0 src1_sel:DWORD
	v_lshrrev_b16_e32 v42, 9, v42
	v_lshrrev_b16_e32 v57, 9, v54
	v_mul_lo_u16_e32 v43, 3, v42
	v_mul_lo_u16_e32 v54, 3, v57
	v_mul_lo_u16_sdwa v55, v68, s2 dst_sel:DWORD dst_unused:UNUSED_PAD src0_sel:BYTE_0 src1_sel:DWORD
	v_add_u32_e32 v77, 0xbd, v64
	v_sub_u16_e32 v43, v64, v43
	v_mov_b32_e32 v50, 5
	v_sub_u16_e32 v58, v70, v54
	v_lshrrev_b16_e32 v63, 9, v55
	v_mul_lo_u16_sdwa v55, v77, s2 dst_sel:DWORD dst_unused:UNUSED_PAD src0_sel:BYTE_0 src1_sel:DWORD
	v_lshlrev_b32_sdwa v51, v50, v43 dst_sel:DWORD dst_unused:UNUSED_PAD src0_sel:DWORD src1_sel:BYTE_0
	v_lshlrev_b32_sdwa v54, v50, v58 dst_sel:DWORD dst_unused:UNUSED_PAD src0_sel:DWORD src1_sel:BYTE_0
	v_lshrrev_b16_e32 v55, 9, v55
	global_load_dwordx4 v[46:49], v51, s[8:9] offset:16
	global_load_dwordx4 v[59:62], v54, s[8:9] offset:16
	global_load_dwordx4 v[80:83], v54, s[8:9]
	v_mul_lo_u16_e32 v54, 3, v63
	v_mul_lo_u16_e32 v56, 3, v55
	v_sub_u16_e32 v65, v68, v54
	v_sub_u16_e32 v56, v77, v56
	v_lshlrev_b32_sdwa v54, v50, v65 dst_sel:DWORD dst_unused:UNUSED_PAD src0_sel:DWORD src1_sel:BYTE_0
	v_lshlrev_b32_sdwa v50, v50, v56 dst_sel:DWORD dst_unused:UNUSED_PAD src0_sel:DWORD src1_sel:BYTE_0
	global_load_dwordx4 v[84:87], v54, s[8:9]
	global_load_dwordx4 v[88:91], v50, s[8:9] offset:16
	global_load_dwordx4 v[92:95], v54, s[8:9] offset:16
	global_load_dwordx4 v[96:99], v50, s[8:9]
	global_load_dwordx4 v[100:103], v51, s[8:9]
	v_mov_b32_e32 v54, 3
	v_mul_u32_u24_e32 v42, 0x48, v42
	v_lshlrev_b32_sdwa v43, v54, v43 dst_sel:DWORD dst_unused:UNUSED_PAD src0_sel:DWORD src1_sel:BYTE_0
	v_mul_u32_u24_e32 v50, 0x48, v57
	v_add3_u32 v57, 0, v42, v43
	v_lshlrev_b32_sdwa v51, v54, v58 dst_sel:DWORD dst_unused:UNUSED_PAD src0_sel:DWORD src1_sel:BYTE_0
	v_add3_u32 v58, 0, v50, v51
	s_mov_b32 s2, 0xe8584caa
	s_mov_b32 s3, 0xbfebb67a
	;; [unrolled: 1-line block ×4, first 2 shown]
	v_mul_u32_u24_e32 v63, 0x48, v63
	v_lshlrev_b32_sdwa v65, v54, v65 dst_sel:DWORD dst_unused:UNUSED_PAD src0_sel:DWORD src1_sel:BYTE_0
	s_waitcnt lgkmcnt(0)
	; wave barrier
	s_waitcnt vmcnt(6) lgkmcnt(0)
	v_mul_f64 v[73:74], v[30:31], v[61:62]
	v_mul_f64 v[42:43], v[28:29], v[48:49]
	;; [unrolled: 1-line block ×4, first 2 shown]
	s_waitcnt vmcnt(5)
	v_mul_f64 v[104:105], v[24:25], v[82:83]
	v_mul_f64 v[82:83], v[12:13], v[82:83]
	s_waitcnt vmcnt(3)
	v_mul_f64 v[108:109], v[38:39], v[90:91]
	s_waitcnt vmcnt(2)
	;; [unrolled: 2-line block ×4, first 2 shown]
	v_mul_f64 v[114:115], v[22:23], v[102:103]
	v_mul_f64 v[106:107], v[26:27], v[86:87]
	;; [unrolled: 1-line block ×6, first 2 shown]
	v_fma_f64 v[50:51], v[16:17], v[46:47], v[42:43]
	v_fma_f64 v[42:43], v[28:29], v[46:47], -v[48:49]
	v_fma_f64 v[46:47], v[18:19], v[59:60], v[73:74]
	v_fma_f64 v[16:17], v[30:31], v[59:60], -v[61:62]
	v_fma_f64 v[30:31], v[12:13], v[80:81], v[104:105]
	v_fma_f64 v[12:13], v[36:37], v[88:89], v[108:109]
	;; [unrolled: 1-line block ×4, first 2 shown]
	v_mul_f64 v[86:87], v[14:15], v[86:87]
	v_fma_f64 v[48:49], v[24:25], v[80:81], -v[82:83]
	v_fma_f64 v[14:15], v[14:15], v[84:85], v[106:107]
	v_fma_f64 v[24:25], v[71:72], v[92:93], v[110:111]
	v_fma_f64 v[28:29], v[38:39], v[88:89], -v[90:91]
	v_fma_f64 v[10:11], v[10:11], v[96:97], -v[98:99]
	v_fma_f64 v[38:39], v[22:23], v[100:101], -v[102:103]
	v_fma_f64 v[6:7], v[40:41], v[92:93], -v[94:95]
	v_add_f64 v[2:3], v[18:19], v[12:13]
	v_add_f64 v[40:41], v[36:37], v[50:51]
	;; [unrolled: 1-line block ×3, first 2 shown]
	v_fma_f64 v[22:23], v[26:27], v[84:85], -v[86:87]
	v_add_f64 v[80:81], v[14:15], v[24:25]
	v_add_f64 v[26:27], v[10:11], -v[28:29]
	v_add_f64 v[59:60], v[0:1], v[36:37]
	v_add_f64 v[61:62], v[38:39], -v[42:43]
	v_add_f64 v[82:83], v[52:53], v[30:31]
	v_fma_f64 v[2:3], v[2:3], -0.5, v[4:5]
	v_fma_f64 v[40:41], v[40:41], -0.5, v[0:1]
	v_add_f64 v[73:74], v[48:49], -v[16:17]
	v_add_f64 v[84:85], v[44:45], v[14:15]
	v_fma_f64 v[52:53], v[71:72], -0.5, v[52:53]
	v_add_f64 v[86:87], v[22:23], -v[6:7]
	v_fma_f64 v[44:45], v[80:81], -0.5, v[44:45]
	v_add_f64 v[59:60], v[59:60], v[50:51]
	v_add_f64 v[71:72], v[82:83], v[46:47]
	v_fma_f64 v[0:1], v[26:27], s[2:3], v[2:3]
	v_fma_f64 v[82:83], v[61:62], s[2:3], v[40:41]
	;; [unrolled: 1-line block ×4, first 2 shown]
	v_add_f64 v[80:81], v[84:85], v[24:25]
	v_fma_f64 v[84:85], v[73:74], s[2:3], v[52:53]
	v_fma_f64 v[52:53], v[73:74], s[4:5], v[52:53]
	;; [unrolled: 1-line block ×4, first 2 shown]
	v_add3_u32 v40, 0, v63, v65
	ds_write2_b64 v57, v[59:60], v[82:83] offset1:3
	ds_write_b64 v57, v[61:62] offset:48
	ds_write2_b64 v58, v[71:72], v[84:85] offset1:3
	ds_write_b64 v58, v[52:53] offset:48
	;; [unrolled: 2-line block ×3, first 2 shown]
	s_and_saveexec_b64 s[6:7], s[0:1]
	s_cbranch_execz .LBB0_25
; %bb.24:
	v_add_f64 v[4:5], v[4:5], v[18:19]
	v_mul_u32_u24_e32 v26, 0x48, v55
	v_lshlrev_b32_sdwa v27, v54, v56 dst_sel:DWORD dst_unused:UNUSED_PAD src0_sel:DWORD src1_sel:BYTE_0
	v_add3_u32 v26, 0, v26, v27
	v_add_f64 v[4:5], v[4:5], v[12:13]
	ds_write2_b64 v26, v[4:5], v[0:1] offset1:3
	ds_write_b64 v26, v[2:3] offset:48
.LBB0_25:
	s_or_b64 exec, exec, s[6:7]
	v_add_f64 v[4:5], v[38:39], v[42:43]
	v_add_f64 v[26:27], v[20:21], v[38:39]
	;; [unrolled: 1-line block ×4, first 2 shown]
	v_add_f64 v[30:31], v[30:31], -v[46:47]
	v_add_f64 v[46:47], v[22:23], v[6:7]
	v_add_f64 v[48:49], v[10:11], v[28:29]
	v_add_f64 v[36:37], v[36:37], -v[50:51]
	v_fma_f64 v[4:5], v[4:5], -0.5, v[20:21]
	v_add_f64 v[20:21], v[32:33], v[22:23]
	v_add_f64 v[14:15], v[14:15], -v[24:25]
	v_fma_f64 v[22:23], v[38:39], -0.5, v[34:35]
	v_add_f64 v[12:13], v[18:19], -v[12:13]
	v_fma_f64 v[18:19], v[46:47], -0.5, v[32:33]
	v_fma_f64 v[24:25], v[48:49], -0.5, v[8:9]
	v_add_u32_e32 v54, 0x800, v76
	v_add_f64 v[34:35], v[26:27], v[42:43]
	v_fma_f64 v[38:39], v[36:37], s[4:5], v[4:5]
	v_fma_f64 v[36:37], v[36:37], s[2:3], v[4:5]
	v_add_f64 v[41:42], v[44:45], v[16:17]
	v_fma_f64 v[43:44], v[30:31], s[4:5], v[22:23]
	v_fma_f64 v[45:46], v[30:31], s[2:3], v[22:23]
	;; [unrolled: 3-line block ×3, first 2 shown]
	v_fma_f64 v[4:5], v[12:13], s[4:5], v[24:25]
	v_fma_f64 v[6:7], v[12:13], s[2:3], v[24:25]
	s_waitcnt lgkmcnt(0)
	; wave barrier
	s_waitcnt lgkmcnt(0)
	ds_read2_b64 v[12:15], v76 offset1:189
	v_lshl_add_u32 v80, v64, 3, 0
	ds_read2_b64 v[20:23], v54 offset0:59 offset1:122
	ds_read2_b64 v[16:19], v54 offset0:185 offset1:248
	ds_read_b64 v[32:33], v79
	ds_read_b64 v[24:25], v78
	ds_read_b64 v[30:31], v80 offset:2016
	ds_read_b64 v[26:27], v76 offset:4536
	s_waitcnt lgkmcnt(0)
	; wave barrier
	s_waitcnt lgkmcnt(0)
	ds_write2_b64 v57, v[34:35], v[38:39] offset1:3
	ds_write_b64 v57, v[36:37] offset:48
	ds_write2_b64 v58, v[41:42], v[43:44] offset1:3
	ds_write_b64 v58, v[45:46] offset:48
	;; [unrolled: 2-line block ×3, first 2 shown]
	s_and_saveexec_b64 s[2:3], s[0:1]
	s_cbranch_execz .LBB0_27
; %bb.26:
	v_add_f64 v[8:9], v[8:9], v[10:11]
	v_mov_b32_e32 v11, 3
	v_mul_u32_u24_e32 v10, 0x48, v55
	v_lshlrev_b32_sdwa v11, v11, v56 dst_sel:DWORD dst_unused:UNUSED_PAD src0_sel:DWORD src1_sel:BYTE_0
	v_add3_u32 v10, 0, v10, v11
	v_add_f64 v[8:9], v[8:9], v[28:29]
	ds_write2_b64 v10, v[8:9], v[4:5] offset1:3
	ds_write_b64 v10, v[6:7] offset:48
.LBB0_27:
	s_or_b64 exec, exec, s[2:3]
	v_mov_b32_e32 v8, 57
	v_mul_lo_u16_sdwa v9, v64, v8 dst_sel:DWORD dst_unused:UNUSED_PAD src0_sel:BYTE_0 src1_sel:DWORD
	v_lshrrev_b16_e32 v48, 9, v9
	v_mul_lo_u16_e32 v9, 9, v48
	v_sub_u16_e32 v49, v64, v9
	v_mov_b32_e32 v9, 6
	v_lshlrev_b32_sdwa v10, v9, v49 dst_sel:DWORD dst_unused:UNUSED_PAD src0_sel:DWORD src1_sel:BYTE_0
	v_mul_lo_u16_sdwa v8, v70, v8 dst_sel:DWORD dst_unused:UNUSED_PAD src0_sel:BYTE_0 src1_sel:DWORD
	s_waitcnt lgkmcnt(0)
	; wave barrier
	s_waitcnt lgkmcnt(0)
	global_load_dwordx4 v[34:37], v10, s[8:9] offset:112
	global_load_dwordx4 v[38:41], v10, s[8:9] offset:96
	;; [unrolled: 1-line block ×4, first 2 shown]
	v_lshrrev_b16_e32 v55, 9, v8
	v_mul_lo_u16_e32 v8, 9, v55
	v_sub_u16_e32 v56, v70, v8
	v_lshlrev_b32_sdwa v8, v9, v56 dst_sel:DWORD dst_unused:UNUSED_PAD src0_sel:DWORD src1_sel:BYTE_0
	global_load_dwordx4 v[81:84], v8, s[8:9] offset:96
	global_load_dwordx4 v[85:88], v8, s[8:9] offset:112
	;; [unrolled: 1-line block ×4, first 2 shown]
	ds_read2_b64 v[8:11], v76 offset1:189
	ds_read2_b64 v[97:100], v54 offset0:59 offset1:122
	ds_read2_b64 v[101:104], v54 offset0:185 offset1:248
	ds_read_b64 v[42:43], v79
	ds_read_b64 v[28:29], v78
	ds_read_b64 v[60:61], v80 offset:2016
	ds_read_b64 v[105:106], v76 offset:4536
	v_mov_b32_e32 v57, 3
	v_mul_u32_u24_e32 v65, 0x168, v48
	v_lshlrev_b32_sdwa v69, v57, v49 dst_sel:DWORD dst_unused:UNUSED_PAD src0_sel:DWORD src1_sel:BYTE_0
	v_lshlrev_b32_sdwa v113, v57, v56 dst_sel:DWORD dst_unused:UNUSED_PAD src0_sel:DWORD src1_sel:BYTE_0
	s_mov_b32 s10, 0x134454ff
	s_mov_b32 s11, 0xbfee6f0e
	;; [unrolled: 1-line block ×10, first 2 shown]
	v_mul_u32_u24_e32 v55, 0x168, v55
	v_add3_u32 v69, 0, v65, v69
	s_waitcnt lgkmcnt(0)
	; wave barrier
	s_waitcnt lgkmcnt(0)
	v_add3_u32 v65, 0, v55, v113
	v_cmp_gt_u32_e64 s[0:1], 27, v64
	s_waitcnt vmcnt(7)
	v_mul_f64 v[58:59], v[60:61], v[36:37]
	s_waitcnt vmcnt(6)
	v_mul_f64 v[48:49], v[42:43], v[40:41]
	v_mul_f64 v[40:41], v[32:33], v[40:41]
	;; [unrolled: 1-line block ×3, first 2 shown]
	s_waitcnt vmcnt(4)
	v_mul_f64 v[62:63], v[99:100], v[52:53]
	v_mul_f64 v[71:72], v[103:104], v[46:47]
	;; [unrolled: 1-line block ×4, first 2 shown]
	s_waitcnt vmcnt(3)
	v_mul_f64 v[73:74], v[10:11], v[83:84]
	s_waitcnt vmcnt(2)
	v_mul_f64 v[107:108], v[97:98], v[87:88]
	;; [unrolled: 2-line block ×4, first 2 shown]
	v_fma_f64 v[56:57], v[32:33], v[38:39], v[48:49]
	v_fma_f64 v[48:49], v[42:43], v[38:39], -v[40:41]
	v_fma_f64 v[58:59], v[30:31], v[34:35], v[58:59]
	v_fma_f64 v[42:43], v[60:61], v[34:35], -v[36:37]
	v_fma_f64 v[60:61], v[22:23], v[50:51], v[62:63]
	v_fma_f64 v[71:72], v[18:19], v[44:45], v[71:72]
	v_mul_f64 v[83:84], v[14:15], v[83:84]
	v_mul_f64 v[95:96], v[26:27], v[95:96]
	v_fma_f64 v[34:35], v[99:100], v[50:51], -v[52:53]
	v_fma_f64 v[30:31], v[103:104], v[44:45], -v[46:47]
	v_fma_f64 v[46:47], v[14:15], v[81:82], v[73:74]
	v_fma_f64 v[52:53], v[20:21], v[85:86], v[107:108]
	;; [unrolled: 1-line block ×3, first 2 shown]
	v_mul_f64 v[87:88], v[20:21], v[87:88]
	v_mul_f64 v[91:92], v[16:17], v[91:92]
	v_fma_f64 v[73:74], v[26:27], v[93:94], v[111:112]
	v_add_f64 v[16:17], v[58:59], v[60:61]
	v_add_f64 v[36:37], v[56:57], v[71:72]
	v_fma_f64 v[10:11], v[10:11], v[81:82], -v[83:84]
	v_fma_f64 v[40:41], v[105:106], v[93:94], -v[95:96]
	v_add_f64 v[22:23], v[56:57], -v[58:59]
	v_add_f64 v[26:27], v[71:72], -v[60:61]
	;; [unrolled: 1-line block ×4, first 2 shown]
	v_add_f64 v[81:82], v[24:25], v[46:47]
	v_add_f64 v[83:84], v[52:53], v[62:63]
	v_fma_f64 v[32:33], v[97:98], v[85:86], -v[87:88]
	v_fma_f64 v[44:45], v[101:102], v[89:90], -v[91:92]
	v_add_f64 v[93:94], v[46:47], v[73:74]
	v_add_f64 v[14:15], v[12:13], v[56:57]
	v_add_f64 v[18:19], v[48:49], -v[30:31]
	v_fma_f64 v[16:17], v[16:17], -0.5, v[12:13]
	v_add_f64 v[20:21], v[42:43], -v[34:35]
	v_add_f64 v[89:90], v[46:47], -v[52:53]
	;; [unrolled: 1-line block ×3, first 2 shown]
	v_fma_f64 v[12:13], v[36:37], -0.5, v[12:13]
	v_add_f64 v[85:86], v[10:11], -v[40:41]
	v_add_f64 v[22:23], v[22:23], v[26:27]
	v_add_f64 v[26:27], v[38:39], v[50:51]
	v_add_f64 v[36:37], v[81:82], v[52:53]
	v_fma_f64 v[38:39], v[83:84], -0.5, v[24:25]
	v_add_f64 v[87:88], v[32:33], -v[44:45]
	v_fma_f64 v[24:25], v[93:94], -0.5, v[24:25]
	v_add_f64 v[14:15], v[14:15], v[58:59]
	v_fma_f64 v[50:51], v[18:19], s[10:11], v[16:17]
	v_add_f64 v[81:82], v[89:90], v[91:92]
	v_fma_f64 v[16:17], v[18:19], s[16:17], v[16:17]
	v_fma_f64 v[89:90], v[20:21], s[16:17], v[12:13]
	;; [unrolled: 1-line block ×3, first 2 shown]
	v_add_f64 v[36:37], v[36:37], v[62:63]
	v_fma_f64 v[91:92], v[85:86], s[10:11], v[38:39]
	v_add_f64 v[95:96], v[52:53], -v[46:47]
	v_add_f64 v[97:98], v[62:63], -v[73:74]
	v_fma_f64 v[93:94], v[87:88], s[16:17], v[24:25]
	v_fma_f64 v[24:25], v[87:88], s[10:11], v[24:25]
	;; [unrolled: 1-line block ×3, first 2 shown]
	v_add_f64 v[14:15], v[14:15], v[60:61]
	v_fma_f64 v[50:51], v[20:21], s[4:5], v[50:51]
	v_fma_f64 v[16:17], v[20:21], s[6:7], v[16:17]
	;; [unrolled: 1-line block ×4, first 2 shown]
	v_add_f64 v[18:19], v[36:37], v[73:74]
	v_fma_f64 v[36:37], v[87:88], s[4:5], v[91:92]
	v_add_f64 v[83:84], v[95:96], v[97:98]
	v_fma_f64 v[89:90], v[85:86], s[4:5], v[93:94]
	v_fma_f64 v[24:25], v[85:86], s[6:7], v[24:25]
	;; [unrolled: 1-line block ×3, first 2 shown]
	v_add_f64 v[14:15], v[14:15], v[71:72]
	v_fma_f64 v[85:86], v[22:23], s[2:3], v[50:51]
	v_fma_f64 v[87:88], v[26:27], s[2:3], v[20:21]
	;; [unrolled: 1-line block ×8, first 2 shown]
	v_add_u32_e32 v81, 0x400, v76
	ds_write2_b64 v69, v[14:15], v[85:86] offset1:9
	ds_write2_b64 v69, v[87:88], v[12:13] offset0:18 offset1:27
	ds_write_b64 v69, v[16:17] offset:288
	ds_write2_b64 v65, v[18:19], v[26:27] offset1:9
	ds_write2_b64 v65, v[50:51], v[20:21] offset0:18 offset1:27
	ds_write_b64 v65, v[22:23] offset:288
	s_waitcnt lgkmcnt(0)
	; wave barrier
	s_waitcnt lgkmcnt(0)
	ds_read2_b64 v[12:15], v76 offset1:90
	ds_read2_b64 v[36:39], v81 offset0:52 offset1:142
	ds_read2_b64 v[24:27], v54 offset0:104 offset1:194
	ds_read_b64 v[54:55], v76 offset:4320
                                        ; implicit-def: $vgpr18_vgpr19
	s_and_saveexec_b64 s[18:19], s[0:1]
	s_cbranch_execz .LBB0_29
; %bb.28:
	v_add_u32_e32 v0, 0x800, v76
	v_add_u32_e32 v16, 0x1000, v76
	ds_read_b64 v[50:51], v78
	ds_read2_b64 v[20:23], v76 offset0:153 offset1:243
	ds_read2_b64 v[0:3], v0 offset0:77 offset1:167
	;; [unrolled: 1-line block ×3, first 2 shown]
.LBB0_29:
	s_or_b64 exec, exec, s[18:19]
	v_add_f64 v[82:83], v[42:43], v[34:35]
	v_add_f64 v[84:85], v[8:9], v[48:49]
	v_add_f64 v[56:57], v[56:57], -v[71:72]
	v_add_f64 v[86:87], v[48:49], v[30:31]
	v_add_f64 v[58:59], v[58:59], -v[60:61]
	v_add_f64 v[60:61], v[48:49], -v[42:43]
	;; [unrolled: 1-line block ×4, first 2 shown]
	v_fma_f64 v[82:83], v[82:83], -0.5, v[8:9]
	v_add_f64 v[92:93], v[32:33], v[44:45]
	v_add_f64 v[42:43], v[84:85], v[42:43]
	v_add_f64 v[52:53], v[52:53], -v[62:63]
	v_fma_f64 v[8:9], v[86:87], -0.5, v[8:9]
	v_add_f64 v[46:47], v[46:47], -v[73:74]
	v_add_f64 v[73:74], v[10:11], v[40:41]
	v_add_f64 v[88:89], v[34:35], -v[30:31]
	v_fma_f64 v[62:63], v[56:57], s[16:17], v[82:83]
	v_add_f64 v[90:91], v[28:29], v[10:11]
	v_add_f64 v[60:61], v[60:61], v[71:72]
	v_fma_f64 v[71:72], v[92:93], -0.5, v[28:29]
	v_add_f64 v[34:35], v[42:43], v[34:35]
	v_fma_f64 v[42:43], v[56:57], s[10:11], v[82:83]
	v_fma_f64 v[82:83], v[58:59], s[10:11], v[8:9]
	v_fma_f64 v[28:29], v[73:74], -0.5, v[28:29]
	v_fma_f64 v[62:63], v[58:59], s[6:7], v[62:63]
	v_fma_f64 v[8:9], v[58:59], s[16:17], v[8:9]
	v_add_f64 v[84:85], v[90:91], v[32:33]
	v_fma_f64 v[73:74], v[46:47], s[16:17], v[71:72]
	v_add_f64 v[30:31], v[34:35], v[30:31]
	v_fma_f64 v[34:35], v[58:59], s[4:5], v[42:43]
	v_fma_f64 v[42:43], v[56:57], s[6:7], v[82:83]
	v_add_f64 v[82:83], v[40:41], -v[44:45]
	v_fma_f64 v[58:59], v[60:61], s[2:3], v[62:63]
	v_add_f64 v[62:63], v[10:11], -v[32:33]
	;; [unrolled: 2-line block ×3, first 2 shown]
	v_add_f64 v[32:33], v[44:45], -v[40:41]
	v_fma_f64 v[28:29], v[52:53], s[16:17], v[28:29]
	v_fma_f64 v[71:72], v[46:47], s[10:11], v[71:72]
	v_add_f64 v[48:49], v[48:49], v[88:89]
	v_fma_f64 v[8:9], v[56:57], s[4:5], v[8:9]
	v_add_f64 v[44:45], v[84:85], v[44:45]
	v_fma_f64 v[56:57], v[52:53], s[6:7], v[73:74]
	v_add_f64 v[62:63], v[62:63], v[82:83]
	v_fma_f64 v[73:74], v[46:47], s[6:7], v[86:87]
	v_add_f64 v[10:11], v[10:11], v[32:33]
	v_fma_f64 v[28:29], v[46:47], s[4:5], v[28:29]
	v_fma_f64 v[46:47], v[52:53], s[4:5], v[71:72]
	;; [unrolled: 1-line block ×5, first 2 shown]
	v_add_f64 v[40:41], v[44:45], v[40:41]
	v_fma_f64 v[44:45], v[62:63], s[2:3], v[56:57]
	v_fma_f64 v[48:49], v[10:11], s[2:3], v[73:74]
	;; [unrolled: 1-line block ×4, first 2 shown]
	v_add_u32_e32 v28, 0x800, v76
	s_waitcnt lgkmcnt(0)
	; wave barrier
	s_waitcnt lgkmcnt(0)
	ds_write2_b64 v69, v[30:31], v[58:59] offset1:9
	ds_write2_b64 v69, v[42:43], v[8:9] offset0:18 offset1:27
	ds_write_b64 v69, v[52:53] offset:288
	ds_write2_b64 v65, v[40:41], v[44:45] offset1:9
	ds_write2_b64 v65, v[48:49], v[32:33] offset0:18 offset1:27
	ds_write_b64 v65, v[34:35] offset:288
	s_waitcnt lgkmcnt(0)
	; wave barrier
	s_waitcnt lgkmcnt(0)
	ds_read2_b64 v[8:11], v76 offset1:90
	ds_read2_b64 v[44:47], v81 offset0:52 offset1:142
	ds_read2_b64 v[40:43], v28 offset0:104 offset1:194
	ds_read_b64 v[62:63], v76 offset:4320
                                        ; implicit-def: $vgpr30_vgpr31
	s_and_saveexec_b64 s[2:3], s[0:1]
	s_cbranch_execz .LBB0_31
; %bb.30:
	ds_read_b64 v[48:49], v78
	ds_read2_b64 v[32:35], v76 offset0:153 offset1:243
	ds_read2_b64 v[4:7], v28 offset0:77 offset1:167
	v_add_u32_e32 v28, 0x1000, v76
	ds_read2_b64 v[28:31], v28 offset0:1 offset1:91
.LBB0_31:
	s_or_b64 exec, exec, s[2:3]
	v_subrev_u32_e32 v52, 45, v64
	v_cmp_gt_u32_e64 s[2:3], 45, v64
	v_cndmask_b32_e64 v69, v52, v64, s[2:3]
	v_mul_i32_i24_e32 v52, 6, v69
	v_mov_b32_e32 v53, 0
	v_lshlrev_b64 v[52:53], 4, v[52:53]
	s_mov_b32 s16, 0x37e14327
	v_add_co_u32_e64 v89, s[2:3], s8, v52
	v_mov_b32_e32 v52, s9
	v_addc_co_u32_e64 v90, s[2:3], v52, v53, s[2:3]
	global_load_dwordx4 v[56:59], v[89:90], off offset:720
	global_load_dwordx4 v[71:74], v[89:90], off offset:704
	;; [unrolled: 1-line block ×4, first 2 shown]
	s_movk_i32 s2, 0x6d
	s_mov_b32 s4, 0x36b3c0b5
	s_mov_b32 s20, 0xe976ee23
	;; [unrolled: 1-line block ×19, first 2 shown]
	s_waitcnt vmcnt(0) lgkmcnt(3)
	v_mul_f64 v[52:53], v[10:11], v[87:88]
	v_fma_f64 v[52:53], v[14:15], v[85:86], v[52:53]
	v_mul_f64 v[14:15], v[14:15], v[87:88]
	v_fma_f64 v[14:15], v[10:11], v[85:86], -v[14:15]
	s_waitcnt lgkmcnt(2)
	v_mul_f64 v[10:11], v[44:45], v[83:84]
	v_fma_f64 v[10:11], v[36:37], v[81:82], v[10:11]
	v_mul_f64 v[36:37], v[36:37], v[83:84]
	v_fma_f64 v[44:45], v[44:45], v[81:82], -v[36:37]
	v_mul_f64 v[36:37], v[46:47], v[73:74]
	v_fma_f64 v[36:37], v[38:39], v[71:72], v[36:37]
	v_mul_f64 v[38:39], v[38:39], v[73:74]
	v_fma_f64 v[38:39], v[46:47], v[71:72], -v[38:39]
	s_waitcnt lgkmcnt(1)
	v_mul_f64 v[46:47], v[40:41], v[58:59]
	v_fma_f64 v[46:47], v[24:25], v[56:57], v[46:47]
	v_mul_f64 v[24:25], v[24:25], v[58:59]
	global_load_dwordx4 v[71:74], v[89:90], off offset:752
	global_load_dwordx4 v[58:61], v[89:90], off offset:736
	v_fma_f64 v[24:25], v[40:41], v[56:57], -v[24:25]
	s_waitcnt vmcnt(0)
	v_mul_f64 v[40:41], v[42:43], v[60:61]
	v_fma_f64 v[56:57], v[26:27], v[58:59], v[40:41]
	v_mul_f64 v[26:27], v[26:27], v[60:61]
	v_fma_f64 v[60:61], v[42:43], v[58:59], -v[26:27]
	s_waitcnt lgkmcnt(0)
	v_mul_f64 v[26:27], v[62:63], v[73:74]
	v_fma_f64 v[58:59], v[54:55], v[71:72], v[26:27]
	v_mul_f64 v[26:27], v[54:55], v[73:74]
	v_fma_f64 v[62:63], v[62:63], v[71:72], -v[26:27]
	v_mul_lo_u16_sdwa v26, v70, s2 dst_sel:DWORD dst_unused:UNUSED_PAD src0_sel:BYTE_0 src1_sel:DWORD
	v_sub_u16_sdwa v27, v70, v26 dst_sel:DWORD dst_unused:UNUSED_PAD src0_sel:DWORD src1_sel:BYTE_1
	v_lshrrev_b16_e32 v27, 1, v27
	v_and_b32_e32 v27, 0x7f, v27
	v_add_u16_sdwa v26, v27, v26 dst_sel:DWORD dst_unused:UNUSED_PAD src0_sel:DWORD src1_sel:BYTE_1
	v_lshrrev_b16_e32 v26, 5, v26
	v_mul_lo_u16_e32 v26, 45, v26
	v_sub_u16_e32 v26, v70, v26
	v_and_b32_e32 v65, 0xff, v26
	v_mul_u32_u24_e32 v26, 6, v65
	v_lshlrev_b32_e32 v89, 4, v26
	global_load_dwordx4 v[71:74], v89, s[8:9] offset:720
	global_load_dwordx4 v[40:43], v89, s[8:9] offset:704
	global_load_dwordx4 v[81:84], v89, s[8:9] offset:688
	global_load_dwordx4 v[85:88], v89, s[8:9] offset:672
	v_cmp_lt_u32_e64 s[2:3], 44, v64
	v_lshl_add_u32 v65, v65, 3, 0
	s_waitcnt vmcnt(0)
	v_mul_f64 v[26:27], v[32:33], v[87:88]
	v_fma_f64 v[26:27], v[20:21], v[85:86], v[26:27]
	v_mul_f64 v[20:21], v[20:21], v[87:88]
	v_fma_f64 v[32:33], v[32:33], v[85:86], -v[20:21]
	v_mul_f64 v[20:21], v[34:35], v[83:84]
	v_fma_f64 v[20:21], v[22:23], v[81:82], v[20:21]
	v_mul_f64 v[22:23], v[22:23], v[83:84]
	v_fma_f64 v[34:35], v[34:35], v[81:82], -v[22:23]
	;; [unrolled: 4-line block ×3, first 2 shown]
	v_mul_f64 v[0:1], v[6:7], v[73:74]
	v_fma_f64 v[42:43], v[2:3], v[71:72], v[0:1]
	v_mul_f64 v[0:1], v[2:3], v[73:74]
	v_add_f64 v[73:74], v[24:25], -v[38:39]
	v_fma_f64 v[54:55], v[6:7], v[71:72], -v[0:1]
	global_load_dwordx4 v[0:3], v89, s[8:9] offset:752
	global_load_dwordx4 v[4:7], v89, s[8:9] offset:736
	s_waitcnt lgkmcnt(0)
	; wave barrier
	s_waitcnt vmcnt(0)
	v_mul_f64 v[71:72], v[28:29], v[6:7]
	v_mul_f64 v[6:7], v[16:17], v[6:7]
	v_fma_f64 v[71:72], v[16:17], v[4:5], v[71:72]
	v_fma_f64 v[16:17], v[28:29], v[4:5], -v[6:7]
	v_mul_f64 v[4:5], v[30:31], v[2:3]
	v_mul_f64 v[2:3], v[18:19], v[2:3]
	v_add_f64 v[6:7], v[44:45], -v[60:61]
	v_fma_f64 v[28:29], v[18:19], v[0:1], v[4:5]
	v_fma_f64 v[18:19], v[30:31], v[0:1], -v[2:3]
	v_add_f64 v[0:1], v[52:53], v[58:59]
	v_add_f64 v[4:5], v[10:11], v[56:57]
	;; [unrolled: 1-line block ×3, first 2 shown]
	v_add_f64 v[2:3], v[14:15], -v[62:63]
	v_add_f64 v[85:86], v[73:74], v[6:7]
	v_add_f64 v[87:88], v[73:74], -v[6:7]
	v_add_f64 v[81:82], v[4:5], v[0:1]
	v_add_f64 v[83:84], v[4:5], -v[0:1]
	v_add_f64 v[0:1], v[0:1], -v[30:31]
	v_add_f64 v[4:5], v[30:31], -v[4:5]
	v_add_f64 v[6:7], v[6:7], -v[2:3]
	v_add_f64 v[73:74], v[2:3], -v[73:74]
	v_add_f64 v[2:3], v[85:86], v[2:3]
	v_mul_f64 v[85:86], v[87:88], s[20:21]
	v_add_f64 v[30:31], v[30:31], v[81:82]
	v_mul_f64 v[0:1], v[0:1], s[16:17]
	v_mul_f64 v[81:82], v[4:5], s[4:5]
	;; [unrolled: 1-line block ×3, first 2 shown]
	v_fma_f64 v[6:7], v[6:7], s[6:7], -v[85:86]
	v_add_f64 v[12:13], v[12:13], v[30:31]
	v_fma_f64 v[4:5], v[4:5], s[4:5], v[0:1]
	v_fma_f64 v[81:82], v[83:84], s[18:19], -v[81:82]
	v_fma_f64 v[0:1], v[83:84], s[22:23], -v[0:1]
	v_fma_f64 v[83:84], v[73:74], s[24:25], v[85:86]
	v_fma_f64 v[73:74], v[73:74], s[26:27], -v[87:88]
	v_fma_f64 v[6:7], v[2:3], s[28:29], v[6:7]
	v_fma_f64 v[30:31], v[30:31], s[10:11], v[12:13]
	v_add_f64 v[4:5], v[4:5], v[30:31]
	v_add_f64 v[81:82], v[81:82], v[30:31]
	;; [unrolled: 1-line block ×3, first 2 shown]
	v_fma_f64 v[30:31], v[2:3], s[28:29], v[83:84]
	v_fma_f64 v[2:3], v[2:3], s[28:29], v[73:74]
	v_add_f64 v[85:86], v[81:82], -v[6:7]
	v_add_f64 v[6:7], v[6:7], v[81:82]
	v_add_f64 v[73:74], v[30:31], v[4:5]
	;; [unrolled: 1-line block ×3, first 2 shown]
	v_add_f64 v[0:1], v[0:1], -v[2:3]
	v_add_f64 v[2:3], v[4:5], -v[30:31]
	v_mov_b32_e32 v4, 0x9d8
	v_cndmask_b32_e64 v4, 0, v4, s[2:3]
	v_lshlrev_b32_e32 v5, 3, v69
	v_add3_u32 v69, 0, v4, v5
	ds_write2_b64 v69, v[12:13], v[73:74] offset1:45
	ds_write2_b64 v69, v[83:84], v[85:86] offset0:90 offset1:135
	ds_write2_b64 v69, v[6:7], v[0:1] offset0:180 offset1:225
	ds_write_b64 v69, v[2:3] offset:2160
	s_and_saveexec_b64 s[2:3], s[0:1]
	s_cbranch_execz .LBB0_33
; %bb.32:
	v_add_f64 v[0:1], v[20:21], v[71:72]
	v_add_f64 v[2:3], v[26:27], v[28:29]
	v_add_f64 v[4:5], v[54:55], -v[40:41]
	v_add_f64 v[6:7], v[34:35], -v[16:17]
	v_add_f64 v[12:13], v[22:23], v[42:43]
	v_add_f64 v[30:31], v[32:33], -v[18:19]
	v_add_f64 v[73:74], v[0:1], v[2:3]
	v_add_f64 v[81:82], v[4:5], -v[6:7]
	v_add_f64 v[83:84], v[2:3], -v[12:13]
	v_add_f64 v[85:86], v[6:7], -v[30:31]
	v_add_f64 v[87:88], v[12:13], -v[0:1]
	v_add_f64 v[6:7], v[4:5], v[6:7]
	v_add_f64 v[4:5], v[30:31], -v[4:5]
	v_add_f64 v[12:13], v[12:13], v[73:74]
	v_add_f64 v[0:1], v[0:1], -v[2:3]
	v_mul_f64 v[2:3], v[81:82], s[20:21]
	v_mul_f64 v[73:74], v[83:84], s[16:17]
	v_mul_f64 v[81:82], v[85:86], s[6:7]
	v_mul_f64 v[83:84], v[87:88], s[4:5]
	v_add_f64 v[6:7], v[6:7], v[30:31]
	v_add_f64 v[50:51], v[50:51], v[12:13]
	v_fma_f64 v[30:31], v[4:5], s[24:25], v[2:3]
	v_fma_f64 v[89:90], v[0:1], s[22:23], -v[73:74]
	v_fma_f64 v[4:5], v[4:5], s[26:27], -v[81:82]
	;; [unrolled: 1-line block ×4, first 2 shown]
	v_fma_f64 v[73:74], v[87:88], s[4:5], v[73:74]
	v_fma_f64 v[12:13], v[12:13], s[10:11], v[50:51]
	;; [unrolled: 1-line block ×5, first 2 shown]
	v_add_f64 v[6:7], v[89:90], v[12:13]
	v_add_f64 v[0:1], v[0:1], v[12:13]
	;; [unrolled: 1-line block ×3, first 2 shown]
	v_add_f64 v[73:74], v[6:7], -v[4:5]
	v_add_f64 v[81:82], v[0:1], -v[2:3]
	v_add_f64 v[83:84], v[30:31], v[12:13]
	v_add_f64 v[4:5], v[4:5], v[6:7]
	;; [unrolled: 1-line block ×3, first 2 shown]
	v_add_f64 v[2:3], v[12:13], -v[30:31]
	v_add_u32_e32 v6, 0x800, v65
	v_add_u32_e32 v7, 0xc00, v65
	ds_write2_b64 v6, v[50:51], v[83:84] offset0:59 offset1:104
	ds_write2_b64 v6, v[4:5], v[81:82] offset0:149 offset1:194
	;; [unrolled: 1-line block ×3, first 2 shown]
	ds_write_b64 v65, v[2:3] offset:4680
.LBB0_33:
	s_or_b64 exec, exec, s[2:3]
	v_add_f64 v[0:1], v[14:15], v[62:63]
	v_add_f64 v[2:3], v[44:45], v[60:61]
	v_add_f64 v[4:5], v[10:11], -v[56:57]
	v_add_f64 v[6:7], v[38:39], v[24:25]
	v_add_f64 v[10:11], v[46:47], -v[36:37]
	v_add_f64 v[12:13], v[52:53], -v[58:59]
	s_waitcnt lgkmcnt(0)
	; wave barrier
	s_waitcnt lgkmcnt(0)
	v_add_u32_e32 v58, 0x800, v76
	v_add_f64 v[14:15], v[2:3], v[0:1]
	v_add_f64 v[24:25], v[0:1], -v[6:7]
	v_add_f64 v[30:31], v[10:11], -v[4:5]
	v_add_f64 v[36:37], v[4:5], -v[12:13]
	v_add_f64 v[4:5], v[10:11], v[4:5]
	v_add_f64 v[10:11], v[12:13], -v[10:11]
	v_add_f64 v[0:1], v[2:3], -v[0:1]
	v_add_f64 v[14:15], v[6:7], v[14:15]
	v_add_f64 v[6:7], v[6:7], -v[2:3]
	v_mul_f64 v[24:25], v[24:25], s[16:17]
	v_mul_f64 v[30:31], v[30:31], s[20:21]
	v_mul_f64 v[38:39], v[36:37], s[6:7]
	v_add_f64 v[4:5], v[4:5], v[12:13]
	ds_read_b64 v[12:13], v76
	v_add_f64 v[44:45], v[8:9], v[14:15]
	v_mul_f64 v[2:3], v[6:7], s[4:5]
	v_fma_f64 v[6:7], v[6:7], s[4:5], v[24:25]
	v_fma_f64 v[8:9], v[10:11], s[24:25], v[30:31]
	v_fma_f64 v[30:31], v[36:37], s[6:7], -v[30:31]
	v_fma_f64 v[10:11], v[10:11], s[26:27], -v[38:39]
	;; [unrolled: 1-line block ×3, first 2 shown]
	v_fma_f64 v[14:15], v[14:15], s[10:11], v[44:45]
	v_fma_f64 v[0:1], v[0:1], s[18:19], -v[2:3]
	v_fma_f64 v[8:9], v[4:5], s[28:29], v[8:9]
	v_fma_f64 v[36:37], v[4:5], s[28:29], v[30:31]
	;; [unrolled: 1-line block ×3, first 2 shown]
	v_add_f64 v[6:7], v[6:7], v[14:15]
	v_add_f64 v[10:11], v[24:25], v[14:15]
	;; [unrolled: 1-line block ×3, first 2 shown]
	ds_read_b64 v[14:15], v79
	ds_read2_b64 v[0:3], v80 offset0:189 offset1:252
	ds_read_b64 v[24:25], v78
	ds_read_b64 v[30:31], v76 offset:4536
	v_add_f64 v[46:47], v[6:7], -v[8:9]
	v_add_f64 v[50:51], v[10:11], -v[4:5]
	v_add_f64 v[52:53], v[36:37], v[38:39]
	v_add_f64 v[36:37], v[38:39], -v[36:37]
	v_add_f64 v[38:39], v[4:5], v[10:11]
	v_add_f64 v[56:57], v[8:9], v[6:7]
	ds_read2_b64 v[4:7], v58 offset0:59 offset1:122
	ds_read2_b64 v[8:11], v58 offset0:185 offset1:248
	s_waitcnt lgkmcnt(0)
	; wave barrier
	s_waitcnt lgkmcnt(0)
	ds_write2_b64 v69, v[44:45], v[46:47] offset1:45
	ds_write2_b64 v69, v[50:51], v[52:53] offset0:90 offset1:135
	ds_write2_b64 v69, v[36:37], v[38:39] offset0:180 offset1:225
	ds_write_b64 v69, v[56:57] offset:2160
	s_and_saveexec_b64 s[2:3], s[0:1]
	s_cbranch_execz .LBB0_35
; %bb.34:
	v_add_f64 v[18:19], v[32:33], v[18:19]
	v_add_f64 v[16:17], v[34:35], v[16:17]
	v_add_f64 v[26:27], v[26:27], -v[28:29]
	v_add_f64 v[28:29], v[40:41], v[54:55]
	v_add_f64 v[20:21], v[20:21], -v[71:72]
	v_add_f64 v[22:23], v[42:43], -v[22:23]
	s_mov_b32 s0, 0x37e14327
	s_mov_b32 s1, 0x3fe948f6
	;; [unrolled: 1-line block ×3, first 2 shown]
	v_add_f64 v[32:33], v[16:17], v[18:19]
	s_mov_b32 s7, 0x3fe11646
	v_add_f64 v[34:35], v[18:19], -v[28:29]
	s_mov_b32 s10, 0x429ad128
	v_add_f64 v[36:37], v[22:23], v[20:21]
	v_add_f64 v[38:39], v[22:23], -v[20:21]
	v_add_f64 v[20:21], v[20:21], -v[26:27]
	s_mov_b32 s11, 0xbfebfeb5
	v_add_f64 v[32:33], v[28:29], v[32:33]
	v_add_f64 v[28:29], v[28:29], -v[16:17]
	v_add_f64 v[16:17], v[16:17], -v[18:19]
	;; [unrolled: 1-line block ×3, first 2 shown]
	v_mul_f64 v[34:35], v[34:35], s[0:1]
	v_add_f64 v[26:27], v[36:37], v[26:27]
	v_mul_f64 v[36:37], v[38:39], s[6:7]
	v_mul_f64 v[38:39], v[20:21], s[10:11]
	v_add_f64 v[40:41], v[48:49], v[32:33]
	v_mul_f64 v[22:23], v[28:29], s[4:5]
	s_mov_b32 s1, 0x3fe77f67
	s_mov_b32 s0, 0x5476071b
	;; [unrolled: 1-line block ×4, first 2 shown]
	v_fma_f64 v[28:29], v[28:29], s[4:5], v[34:35]
	v_fma_f64 v[20:21], v[20:21], s[10:11], -v[36:37]
	v_fma_f64 v[32:33], v[32:33], s[16:17], v[40:41]
	v_fma_f64 v[22:23], v[16:17], s[0:1], -v[22:23]
	s_mov_b32 s1, 0xbfe77f67
	v_fma_f64 v[16:17], v[16:17], s[0:1], -v[34:35]
	s_mov_b32 s1, 0xbfd5d0dc
	s_mov_b32 s0, 0xb247c609
	v_fma_f64 v[34:35], v[18:19], s[0:1], v[36:37]
	s_mov_b32 s1, 0x3fd5d0dc
	v_fma_f64 v[18:19], v[18:19], s[0:1], -v[38:39]
	s_mov_b32 s0, 0x37c3f68c
	s_mov_b32 s1, 0xbfdc38aa
	v_add_f64 v[28:29], v[28:29], v[32:33]
	v_add_f64 v[22:23], v[22:23], v[32:33]
	;; [unrolled: 1-line block ×3, first 2 shown]
	v_fma_f64 v[32:33], v[26:27], s[0:1], v[34:35]
	v_fma_f64 v[20:21], v[26:27], s[0:1], v[20:21]
	;; [unrolled: 1-line block ×3, first 2 shown]
	v_add_f64 v[26:27], v[28:29], -v[32:33]
	v_add_f64 v[36:37], v[20:21], v[22:23]
	v_add_f64 v[34:35], v[16:17], -v[18:19]
	v_add_f64 v[20:21], v[22:23], -v[20:21]
	v_add_f64 v[16:17], v[18:19], v[16:17]
	v_add_f64 v[18:19], v[32:33], v[28:29]
	v_add_u32_e32 v22, 0x800, v65
	ds_write2_b64 v22, v[40:41], v[26:27] offset0:59 offset1:104
	ds_write2_b64 v22, v[34:35], v[36:37] offset0:149 offset1:194
	v_add_u32_e32 v22, 0xc00, v65
	ds_write2_b64 v22, v[20:21], v[16:17] offset0:111 offset1:156
	ds_write_b64 v65, v[18:19] offset:4680
.LBB0_35:
	s_or_b64 exec, exec, s[2:3]
	s_waitcnt lgkmcnt(0)
	; wave barrier
	s_waitcnt lgkmcnt(0)
	s_and_saveexec_b64 s[0:1], vcc
	s_cbranch_execz .LBB0_37
; %bb.36:
	v_mov_b32_e32 v65, 0
	v_lshlrev_b64 v[16:17], 4, v[64:65]
	v_mov_b32_e32 v34, s9
	v_add_co_u32_e32 v20, vcc, s8, v16
	v_addc_co_u32_e32 v21, vcc, v34, v17, vcc
	v_add_co_u32_e32 v16, vcc, 0x2000, v20
	v_addc_co_u32_e32 v17, vcc, 0, v21, vcc
	s_movk_i32 s0, 0x1000
	v_add_co_u32_e32 v40, vcc, s0, v20
	v_mov_b32_e32 v69, v65
	v_addc_co_u32_e32 v41, vcc, 0, v21, vcc
	v_lshlrev_b64 v[20:21], 4, v[68:69]
	v_mov_b32_e32 v71, v65
	v_add_co_u32_e32 v20, vcc, s8, v20
	v_addc_co_u32_e32 v21, vcc, v34, v21, vcc
	v_add_co_u32_e32 v32, vcc, s0, v20
	v_addc_co_u32_e32 v33, vcc, 0, v21, vcc
	global_load_dwordx4 v[16:19], v[16:17], off offset:832
	s_nop 0
	global_load_dwordx4 v[20:23], v[40:41], off offset:3920
	global_load_dwordx4 v[26:29], v[32:33], off offset:896
	v_lshlrev_b64 v[32:33], 4, v[70:71]
	v_add_u32_e32 v48, 0x800, v76
	v_add_co_u32_e32 v32, vcc, s8, v32
	v_addc_co_u32_e32 v33, vcc, v34, v33, vcc
	v_add_co_u32_e32 v42, vcc, s0, v32
	v_addc_co_u32_e32 v43, vcc, 0, v33, vcc
	global_load_dwordx4 v[32:35], v[42:43], off offset:896
	global_load_dwordx4 v[36:39], v[40:41], off offset:896
	ds_read2_b64 v[40:43], v80 offset0:189 offset1:252
	ds_read_b64 v[52:53], v79
	ds_read_b64 v[54:55], v78
	ds_read_b64 v[56:57], v76 offset:4536
	ds_read_b64 v[58:59], v76
	v_mov_b32_e32 v65, s15
	v_add_u32_e32 v69, 0x13b, v64
	v_add_co_u32_e32 v76, vcc, s14, v66
	v_mad_u64_u32 v[60:61], s[0:1], s12, v64, 0
	v_mad_u64_u32 v[62:63], s[2:3], s12, v75, 0
	v_addc_co_u32_e32 v80, vcc, v65, v67, vcc
	v_mad_u64_u32 v[65:66], s[2:3], s12, v69, 0
	ds_read2_b64 v[44:47], v48 offset0:185 offset1:248
	ds_read2_b64 v[48:51], v48 offset0:59 offset1:122
	v_mad_u64_u32 v[67:68], s[2:3], s13, v64, v[61:62]
	v_mov_b32_e32 v61, v66
	v_mad_u64_u32 v[68:69], s[2:3], s13, v69, v[61:62]
	v_mov_b32_e32 v61, v67
	v_lshlrev_b64 v[60:61], 4, v[60:61]
	v_mov_b32_e32 v66, v68
	v_lshlrev_b64 v[65:66], 4, v[65:66]
	v_add_co_u32_e32 v60, vcc, v76, v60
	v_addc_co_u32_e32 v61, vcc, v80, v61, vcc
	s_mov_b32 s1, 0xa01a01a1
	s_movk_i32 s0, 0x13b
	s_waitcnt vmcnt(4)
	v_mul_f64 v[69:70], v[30:31], v[18:19]
	s_waitcnt vmcnt(3)
	v_mul_f64 v[67:68], v[10:11], v[22:23]
	s_waitcnt lgkmcnt(1)
	v_mul_f64 v[22:23], v[46:47], v[22:23]
	v_mul_f64 v[18:19], v[56:57], v[18:19]
	s_waitcnt vmcnt(2)
	v_mul_f64 v[71:72], v[8:9], v[28:29]
	v_mul_f64 v[28:29], v[44:45], v[28:29]
	v_fma_f64 v[46:47], v[46:47], v[20:21], -v[67:68]
	v_fma_f64 v[10:11], v[10:11], v[20:21], v[22:23]
	s_waitcnt vmcnt(1)
	v_mul_f64 v[73:74], v[6:7], v[34:35]
	s_waitcnt vmcnt(0)
	v_mul_f64 v[78:79], v[4:5], v[38:39]
	s_waitcnt lgkmcnt(0)
	v_mul_f64 v[38:39], v[48:49], v[38:39]
	v_mul_f64 v[34:35], v[50:51], v[34:35]
	v_fma_f64 v[20:21], v[56:57], v[16:17], -v[69:70]
	v_fma_f64 v[22:23], v[30:31], v[16:17], v[18:19]
	v_fma_f64 v[30:31], v[44:45], v[26:27], -v[71:72]
	v_fma_f64 v[26:27], v[8:9], v[26:27], v[28:29]
	v_fma_f64 v[28:29], v[50:51], v[32:33], -v[73:74]
	v_fma_f64 v[16:17], v[48:49], v[36:37], -v[78:79]
	v_fma_f64 v[36:37], v[4:5], v[36:37], v[38:39]
	v_fma_f64 v[32:33], v[6:7], v[32:33], v[34:35]
	v_add_f64 v[4:5], v[0:1], -v[10:11]
	v_add_f64 v[10:11], v[42:43], -v[20:21]
	;; [unrolled: 1-line block ×9, first 2 shown]
	v_fma_f64 v[30:31], v[0:1], 2.0, -v[4:5]
	v_fma_f64 v[38:39], v[2:3], 2.0, -v[8:9]
	;; [unrolled: 1-line block ×7, first 2 shown]
	v_mad_u64_u32 v[24:25], s[2:3], s13, v75, v[63:64]
	v_fma_f64 v[2:3], v[52:53], 2.0, -v[22:23]
	v_add_f64 v[6:7], v[40:41], -v[46:47]
	v_mov_b32_e32 v63, v24
	v_add_u32_e32 v24, 0x17a, v64
	global_store_dwordx4 v[60:61], v[34:37], off
	v_fma_f64 v[32:33], v[40:41], 2.0, -v[6:7]
	v_add_co_u32_e32 v34, vcc, v76, v65
	v_addc_co_u32_e32 v35, vcc, v80, v66, vcc
	global_store_dwordx4 v[34:35], v[16:19], off
	v_fma_f64 v[40:41], v[42:43], 2.0, -v[10:11]
	v_mad_u64_u32 v[18:19], s[2:3], s12, v24, 0
	v_lshlrev_b64 v[16:17], 4, v[62:63]
	v_mad_u64_u32 v[24:25], s[2:3], s13, v24, v[19:20]
	v_add_u32_e32 v25, 0x7e, v64
	v_mad_u64_u32 v[34:35], s[2:3], s12, v25, 0
	v_add_co_u32_e32 v16, vcc, v76, v16
	v_addc_co_u32_e32 v17, vcc, v80, v17, vcc
	global_store_dwordx4 v[16:17], v[12:15], off
	v_add_u32_e32 v16, 0x1b9, v64
	v_mov_b32_e32 v14, v35
	v_mad_u64_u32 v[14:15], s[2:3], s13, v25, v[14:15]
	v_mov_b32_e32 v19, v24
	v_lshlrev_b64 v[12:13], 4, v[18:19]
	v_mov_b32_e32 v35, v14
	v_mad_u64_u32 v[14:15], s[2:3], s12, v16, 0
	v_add_co_u32_e32 v12, vcc, v76, v12
	v_addc_co_u32_e32 v13, vcc, v80, v13, vcc
	v_mad_u64_u32 v[15:16], s[2:3], s13, v16, v[15:16]
	global_store_dwordx4 v[12:13], v[26:29], off
	v_lshlrev_b64 v[12:13], 4, v[34:35]
	v_mad_u64_u32 v[16:17], s[2:3], s12, v77, 0
	v_add_co_u32_e32 v12, vcc, v76, v12
	v_addc_co_u32_e32 v13, vcc, v80, v13, vcc
	global_store_dwordx4 v[12:13], v[0:3], off
	v_add_u32_e32 v12, 0x1f8, v64
	v_mov_b32_e32 v2, v17
	v_mad_u64_u32 v[2:3], s[2:3], s13, v77, v[2:3]
	v_lshlrev_b64 v[0:1], 4, v[14:15]
	v_mov_b32_e32 v17, v2
	v_mad_u64_u32 v[2:3], s[2:3], s12, v12, 0
	v_add_co_u32_e32 v0, vcc, v76, v0
	v_mad_u64_u32 v[12:13], s[2:3], s13, v12, v[3:4]
	v_addc_co_u32_e32 v1, vcc, v80, v1, vcc
	v_add_u32_e32 v13, 0xfc, v64
	global_store_dwordx4 v[0:1], v[20:23], off
	v_lshlrev_b64 v[0:1], 4, v[16:17]
	v_mul_hi_u32 v14, v13, s1
	v_add_co_u32_e32 v0, vcc, v76, v0
	v_addc_co_u32_e32 v1, vcc, v80, v1, vcc
	v_mov_b32_e32 v3, v12
	global_store_dwordx4 v[0:1], v[30:33], off
	v_lshlrev_b64 v[0:1], 4, v[2:3]
	v_sub_u32_e32 v2, v13, v14
	v_lshrrev_b32_e32 v2, 1, v2
	v_add_u32_e32 v2, v2, v14
	v_lshrrev_b32_e32 v2, 8, v2
	v_mad_u32_u24 v14, v2, s0, v13
	v_mad_u64_u32 v[2:3], s[0:1], s12, v14, 0
	v_add_u32_e32 v15, 0x13b, v14
	v_add_co_u32_e32 v0, vcc, v76, v0
	v_mad_u64_u32 v[12:13], s[0:1], s13, v14, v[3:4]
	v_mad_u64_u32 v[13:14], s[0:1], s12, v15, 0
	v_addc_co_u32_e32 v1, vcc, v80, v1, vcc
	v_mov_b32_e32 v3, v12
	global_store_dwordx4 v[0:1], v[4:7], off
	v_lshlrev_b64 v[0:1], 4, v[2:3]
	v_mov_b32_e32 v2, v14
	v_mad_u64_u32 v[2:3], s[0:1], s13, v15, v[2:3]
	v_add_co_u32_e32 v0, vcc, v76, v0
	v_addc_co_u32_e32 v1, vcc, v80, v1, vcc
	v_mov_b32_e32 v14, v2
	global_store_dwordx4 v[0:1], v[38:41], off
	v_lshlrev_b64 v[0:1], 4, v[13:14]
	v_add_co_u32_e32 v0, vcc, v76, v0
	v_addc_co_u32_e32 v1, vcc, v80, v1, vcc
	global_store_dwordx4 v[0:1], v[8:11], off
.LBB0_37:
	s_endpgm
	.section	.rodata,"a",@progbits
	.p2align	6, 0x0
	.amdhsa_kernel fft_rtc_back_len630_factors_3_3_5_7_2_wgs_63_tpt_63_halfLds_dp_ip_CI_sbrr_dirReg
		.amdhsa_group_segment_fixed_size 0
		.amdhsa_private_segment_fixed_size 0
		.amdhsa_kernarg_size 88
		.amdhsa_user_sgpr_count 6
		.amdhsa_user_sgpr_private_segment_buffer 1
		.amdhsa_user_sgpr_dispatch_ptr 0
		.amdhsa_user_sgpr_queue_ptr 0
		.amdhsa_user_sgpr_kernarg_segment_ptr 1
		.amdhsa_user_sgpr_dispatch_id 0
		.amdhsa_user_sgpr_flat_scratch_init 0
		.amdhsa_user_sgpr_private_segment_size 0
		.amdhsa_uses_dynamic_stack 0
		.amdhsa_system_sgpr_private_segment_wavefront_offset 0
		.amdhsa_system_sgpr_workgroup_id_x 1
		.amdhsa_system_sgpr_workgroup_id_y 0
		.amdhsa_system_sgpr_workgroup_id_z 0
		.amdhsa_system_sgpr_workgroup_info 0
		.amdhsa_system_vgpr_workitem_id 0
		.amdhsa_next_free_vgpr 116
		.amdhsa_next_free_sgpr 30
		.amdhsa_reserve_vcc 1
		.amdhsa_reserve_flat_scratch 0
		.amdhsa_float_round_mode_32 0
		.amdhsa_float_round_mode_16_64 0
		.amdhsa_float_denorm_mode_32 3
		.amdhsa_float_denorm_mode_16_64 3
		.amdhsa_dx10_clamp 1
		.amdhsa_ieee_mode 1
		.amdhsa_fp16_overflow 0
		.amdhsa_exception_fp_ieee_invalid_op 0
		.amdhsa_exception_fp_denorm_src 0
		.amdhsa_exception_fp_ieee_div_zero 0
		.amdhsa_exception_fp_ieee_overflow 0
		.amdhsa_exception_fp_ieee_underflow 0
		.amdhsa_exception_fp_ieee_inexact 0
		.amdhsa_exception_int_div_zero 0
	.end_amdhsa_kernel
	.text
.Lfunc_end0:
	.size	fft_rtc_back_len630_factors_3_3_5_7_2_wgs_63_tpt_63_halfLds_dp_ip_CI_sbrr_dirReg, .Lfunc_end0-fft_rtc_back_len630_factors_3_3_5_7_2_wgs_63_tpt_63_halfLds_dp_ip_CI_sbrr_dirReg
                                        ; -- End function
	.section	.AMDGPU.csdata,"",@progbits
; Kernel info:
; codeLenInByte = 9672
; NumSgprs: 34
; NumVgprs: 116
; ScratchSize: 0
; MemoryBound: 1
; FloatMode: 240
; IeeeMode: 1
; LDSByteSize: 0 bytes/workgroup (compile time only)
; SGPRBlocks: 4
; VGPRBlocks: 28
; NumSGPRsForWavesPerEU: 34
; NumVGPRsForWavesPerEU: 116
; Occupancy: 2
; WaveLimiterHint : 1
; COMPUTE_PGM_RSRC2:SCRATCH_EN: 0
; COMPUTE_PGM_RSRC2:USER_SGPR: 6
; COMPUTE_PGM_RSRC2:TRAP_HANDLER: 0
; COMPUTE_PGM_RSRC2:TGID_X_EN: 1
; COMPUTE_PGM_RSRC2:TGID_Y_EN: 0
; COMPUTE_PGM_RSRC2:TGID_Z_EN: 0
; COMPUTE_PGM_RSRC2:TIDIG_COMP_CNT: 0
	.type	__hip_cuid_e37b9e98316307df,@object ; @__hip_cuid_e37b9e98316307df
	.section	.bss,"aw",@nobits
	.globl	__hip_cuid_e37b9e98316307df
__hip_cuid_e37b9e98316307df:
	.byte	0                               ; 0x0
	.size	__hip_cuid_e37b9e98316307df, 1

	.ident	"AMD clang version 19.0.0git (https://github.com/RadeonOpenCompute/llvm-project roc-6.4.0 25133 c7fe45cf4b819c5991fe208aaa96edf142730f1d)"
	.section	".note.GNU-stack","",@progbits
	.addrsig
	.addrsig_sym __hip_cuid_e37b9e98316307df
	.amdgpu_metadata
---
amdhsa.kernels:
  - .args:
      - .actual_access:  read_only
        .address_space:  global
        .offset:         0
        .size:           8
        .value_kind:     global_buffer
      - .offset:         8
        .size:           8
        .value_kind:     by_value
      - .actual_access:  read_only
        .address_space:  global
        .offset:         16
        .size:           8
        .value_kind:     global_buffer
      - .actual_access:  read_only
        .address_space:  global
        .offset:         24
        .size:           8
        .value_kind:     global_buffer
      - .offset:         32
        .size:           8
        .value_kind:     by_value
      - .actual_access:  read_only
        .address_space:  global
        .offset:         40
        .size:           8
        .value_kind:     global_buffer
      - .actual_access:  read_only
        .address_space:  global
        .offset:         48
        .size:           8
        .value_kind:     global_buffer
      - .offset:         56
        .size:           4
        .value_kind:     by_value
      - .actual_access:  read_only
        .address_space:  global
        .offset:         64
        .size:           8
        .value_kind:     global_buffer
      - .actual_access:  read_only
        .address_space:  global
        .offset:         72
        .size:           8
        .value_kind:     global_buffer
      - .address_space:  global
        .offset:         80
        .size:           8
        .value_kind:     global_buffer
    .group_segment_fixed_size: 0
    .kernarg_segment_align: 8
    .kernarg_segment_size: 88
    .language:       OpenCL C
    .language_version:
      - 2
      - 0
    .max_flat_workgroup_size: 63
    .name:           fft_rtc_back_len630_factors_3_3_5_7_2_wgs_63_tpt_63_halfLds_dp_ip_CI_sbrr_dirReg
    .private_segment_fixed_size: 0
    .sgpr_count:     34
    .sgpr_spill_count: 0
    .symbol:         fft_rtc_back_len630_factors_3_3_5_7_2_wgs_63_tpt_63_halfLds_dp_ip_CI_sbrr_dirReg.kd
    .uniform_work_group_size: 1
    .uses_dynamic_stack: false
    .vgpr_count:     116
    .vgpr_spill_count: 0
    .wavefront_size: 64
amdhsa.target:   amdgcn-amd-amdhsa--gfx906
amdhsa.version:
  - 1
  - 2
...

	.end_amdgpu_metadata
